;; amdgpu-corpus repo=ROCm/rocFFT kind=compiled arch=gfx906 opt=O3
	.text
	.amdgcn_target "amdgcn-amd-amdhsa--gfx906"
	.amdhsa_code_object_version 6
	.protected	fft_rtc_fwd_len2592_factors_6_6_6_6_2_wgs_216_tpt_216_halfLds_dp_op_CI_CI_unitstride_sbrr_C2R_dirReg ; -- Begin function fft_rtc_fwd_len2592_factors_6_6_6_6_2_wgs_216_tpt_216_halfLds_dp_op_CI_CI_unitstride_sbrr_C2R_dirReg
	.globl	fft_rtc_fwd_len2592_factors_6_6_6_6_2_wgs_216_tpt_216_halfLds_dp_op_CI_CI_unitstride_sbrr_C2R_dirReg
	.p2align	8
	.type	fft_rtc_fwd_len2592_factors_6_6_6_6_2_wgs_216_tpt_216_halfLds_dp_op_CI_CI_unitstride_sbrr_C2R_dirReg,@function
fft_rtc_fwd_len2592_factors_6_6_6_6_2_wgs_216_tpt_216_halfLds_dp_op_CI_CI_unitstride_sbrr_C2R_dirReg: ; @fft_rtc_fwd_len2592_factors_6_6_6_6_2_wgs_216_tpt_216_halfLds_dp_op_CI_CI_unitstride_sbrr_C2R_dirReg
; %bb.0:
	s_load_dwordx4 s[8:11], s[4:5], 0x58
	s_load_dwordx4 s[12:15], s[4:5], 0x0
	;; [unrolled: 1-line block ×3, first 2 shown]
	v_mul_u32_u24_e32 v1, 0x130, v0
	v_add_u32_sdwa v5, s6, v1 dst_sel:DWORD dst_unused:UNUSED_PAD src0_sel:DWORD src1_sel:WORD_1
	v_mov_b32_e32 v3, 0
	s_waitcnt lgkmcnt(0)
	v_cmp_lt_u64_e64 s[0:1], s[14:15], 2
	v_mov_b32_e32 v1, 0
	v_mov_b32_e32 v6, v3
	s_and_b64 vcc, exec, s[0:1]
	v_mov_b32_e32 v2, 0
	s_cbranch_vccnz .LBB0_8
; %bb.1:
	s_load_dwordx2 s[0:1], s[4:5], 0x10
	s_add_u32 s2, s18, 8
	s_addc_u32 s3, s19, 0
	s_add_u32 s6, s16, 8
	v_mov_b32_e32 v1, 0
	s_addc_u32 s7, s17, 0
	v_mov_b32_e32 v2, 0
	s_waitcnt lgkmcnt(0)
	s_add_u32 s20, s0, 8
	v_mov_b32_e32 v13, v2
	s_addc_u32 s21, s1, 0
	s_mov_b64 s[22:23], 1
	v_mov_b32_e32 v12, v1
.LBB0_2:                                ; =>This Inner Loop Header: Depth=1
	s_load_dwordx2 s[24:25], s[20:21], 0x0
                                        ; implicit-def: $vgpr16_vgpr17
	s_waitcnt lgkmcnt(0)
	v_or_b32_e32 v4, s25, v6
	v_cmp_ne_u64_e32 vcc, 0, v[3:4]
	s_and_saveexec_b64 s[0:1], vcc
	s_xor_b64 s[26:27], exec, s[0:1]
	s_cbranch_execz .LBB0_4
; %bb.3:                                ;   in Loop: Header=BB0_2 Depth=1
	v_cvt_f32_u32_e32 v4, s24
	v_cvt_f32_u32_e32 v7, s25
	s_sub_u32 s0, 0, s24
	s_subb_u32 s1, 0, s25
	v_mac_f32_e32 v4, 0x4f800000, v7
	v_rcp_f32_e32 v4, v4
	v_mul_f32_e32 v4, 0x5f7ffffc, v4
	v_mul_f32_e32 v7, 0x2f800000, v4
	v_trunc_f32_e32 v7, v7
	v_mac_f32_e32 v4, 0xcf800000, v7
	v_cvt_u32_f32_e32 v7, v7
	v_cvt_u32_f32_e32 v4, v4
	v_mul_lo_u32 v8, s0, v7
	v_mul_hi_u32 v9, s0, v4
	v_mul_lo_u32 v11, s1, v4
	v_mul_lo_u32 v10, s0, v4
	v_add_u32_e32 v8, v9, v8
	v_add_u32_e32 v8, v8, v11
	v_mul_hi_u32 v9, v4, v10
	v_mul_lo_u32 v11, v4, v8
	v_mul_hi_u32 v15, v4, v8
	v_mul_hi_u32 v14, v7, v10
	v_mul_lo_u32 v10, v7, v10
	v_mul_hi_u32 v16, v7, v8
	v_add_co_u32_e32 v9, vcc, v9, v11
	v_addc_co_u32_e32 v11, vcc, 0, v15, vcc
	v_mul_lo_u32 v8, v7, v8
	v_add_co_u32_e32 v9, vcc, v9, v10
	v_addc_co_u32_e32 v9, vcc, v11, v14, vcc
	v_addc_co_u32_e32 v10, vcc, 0, v16, vcc
	v_add_co_u32_e32 v8, vcc, v9, v8
	v_addc_co_u32_e32 v9, vcc, 0, v10, vcc
	v_add_co_u32_e32 v4, vcc, v4, v8
	v_addc_co_u32_e32 v7, vcc, v7, v9, vcc
	v_mul_lo_u32 v8, s0, v7
	v_mul_hi_u32 v9, s0, v4
	v_mul_lo_u32 v10, s1, v4
	v_mul_lo_u32 v11, s0, v4
	v_add_u32_e32 v8, v9, v8
	v_add_u32_e32 v8, v8, v10
	v_mul_lo_u32 v14, v4, v8
	v_mul_hi_u32 v15, v4, v11
	v_mul_hi_u32 v16, v4, v8
	v_mul_hi_u32 v10, v7, v11
	v_mul_lo_u32 v11, v7, v11
	v_mul_hi_u32 v9, v7, v8
	v_add_co_u32_e32 v14, vcc, v15, v14
	v_addc_co_u32_e32 v15, vcc, 0, v16, vcc
	v_mul_lo_u32 v8, v7, v8
	v_add_co_u32_e32 v11, vcc, v14, v11
	v_addc_co_u32_e32 v10, vcc, v15, v10, vcc
	v_addc_co_u32_e32 v9, vcc, 0, v9, vcc
	v_add_co_u32_e32 v8, vcc, v10, v8
	v_addc_co_u32_e32 v9, vcc, 0, v9, vcc
	v_add_co_u32_e32 v4, vcc, v4, v8
	v_addc_co_u32_e32 v9, vcc, v7, v9, vcc
	v_mad_u64_u32 v[7:8], s[0:1], v5, v9, 0
	v_mul_hi_u32 v10, v5, v4
	v_add_co_u32_e32 v11, vcc, v10, v7
	v_addc_co_u32_e32 v14, vcc, 0, v8, vcc
	v_mad_u64_u32 v[7:8], s[0:1], v6, v4, 0
	v_mad_u64_u32 v[9:10], s[0:1], v6, v9, 0
	v_add_co_u32_e32 v4, vcc, v11, v7
	v_addc_co_u32_e32 v4, vcc, v14, v8, vcc
	v_addc_co_u32_e32 v7, vcc, 0, v10, vcc
	v_add_co_u32_e32 v4, vcc, v4, v9
	v_addc_co_u32_e32 v9, vcc, 0, v7, vcc
	v_mul_lo_u32 v10, s25, v4
	v_mul_lo_u32 v11, s24, v9
	v_mad_u64_u32 v[7:8], s[0:1], s24, v4, 0
	v_add3_u32 v8, v8, v11, v10
	v_sub_u32_e32 v10, v6, v8
	v_mov_b32_e32 v11, s25
	v_sub_co_u32_e32 v7, vcc, v5, v7
	v_subb_co_u32_e64 v10, s[0:1], v10, v11, vcc
	v_subrev_co_u32_e64 v11, s[0:1], s24, v7
	v_subbrev_co_u32_e64 v10, s[0:1], 0, v10, s[0:1]
	v_cmp_le_u32_e64 s[0:1], s25, v10
	v_cndmask_b32_e64 v14, 0, -1, s[0:1]
	v_cmp_le_u32_e64 s[0:1], s24, v11
	v_cndmask_b32_e64 v11, 0, -1, s[0:1]
	v_cmp_eq_u32_e64 s[0:1], s25, v10
	v_cndmask_b32_e64 v10, v14, v11, s[0:1]
	v_add_co_u32_e64 v11, s[0:1], 2, v4
	v_addc_co_u32_e64 v14, s[0:1], 0, v9, s[0:1]
	v_add_co_u32_e64 v15, s[0:1], 1, v4
	v_addc_co_u32_e64 v16, s[0:1], 0, v9, s[0:1]
	v_subb_co_u32_e32 v8, vcc, v6, v8, vcc
	v_cmp_ne_u32_e64 s[0:1], 0, v10
	v_cmp_le_u32_e32 vcc, s25, v8
	v_cndmask_b32_e64 v10, v16, v14, s[0:1]
	v_cndmask_b32_e64 v14, 0, -1, vcc
	v_cmp_le_u32_e32 vcc, s24, v7
	v_cndmask_b32_e64 v7, 0, -1, vcc
	v_cmp_eq_u32_e32 vcc, s25, v8
	v_cndmask_b32_e32 v7, v14, v7, vcc
	v_cmp_ne_u32_e32 vcc, 0, v7
	v_cndmask_b32_e64 v7, v15, v11, s[0:1]
	v_cndmask_b32_e32 v17, v9, v10, vcc
	v_cndmask_b32_e32 v16, v4, v7, vcc
.LBB0_4:                                ;   in Loop: Header=BB0_2 Depth=1
	s_andn2_saveexec_b64 s[0:1], s[26:27]
	s_cbranch_execz .LBB0_6
; %bb.5:                                ;   in Loop: Header=BB0_2 Depth=1
	v_cvt_f32_u32_e32 v4, s24
	s_sub_i32 s26, 0, s24
	v_mov_b32_e32 v17, v3
	v_rcp_iflag_f32_e32 v4, v4
	v_mul_f32_e32 v4, 0x4f7ffffe, v4
	v_cvt_u32_f32_e32 v4, v4
	v_mul_lo_u32 v7, s26, v4
	v_mul_hi_u32 v7, v4, v7
	v_add_u32_e32 v4, v4, v7
	v_mul_hi_u32 v4, v5, v4
	v_mul_lo_u32 v7, v4, s24
	v_add_u32_e32 v8, 1, v4
	v_sub_u32_e32 v7, v5, v7
	v_subrev_u32_e32 v9, s24, v7
	v_cmp_le_u32_e32 vcc, s24, v7
	v_cndmask_b32_e32 v7, v7, v9, vcc
	v_cndmask_b32_e32 v4, v4, v8, vcc
	v_add_u32_e32 v8, 1, v4
	v_cmp_le_u32_e32 vcc, s24, v7
	v_cndmask_b32_e32 v16, v4, v8, vcc
.LBB0_6:                                ;   in Loop: Header=BB0_2 Depth=1
	s_or_b64 exec, exec, s[0:1]
	v_mul_lo_u32 v4, v17, s24
	v_mul_lo_u32 v9, v16, s25
	v_mad_u64_u32 v[7:8], s[0:1], v16, s24, 0
	s_load_dwordx2 s[0:1], s[6:7], 0x0
	s_load_dwordx2 s[24:25], s[2:3], 0x0
	v_add3_u32 v4, v8, v9, v4
	v_sub_co_u32_e32 v5, vcc, v5, v7
	v_subb_co_u32_e32 v4, vcc, v6, v4, vcc
	s_waitcnt lgkmcnt(0)
	v_mul_lo_u32 v6, s0, v4
	v_mul_lo_u32 v7, s1, v5
	v_mad_u64_u32 v[1:2], s[0:1], s0, v5, v[1:2]
	v_mul_lo_u32 v4, s24, v4
	v_mul_lo_u32 v8, s25, v5
	v_mad_u64_u32 v[12:13], s[0:1], s24, v5, v[12:13]
	s_add_u32 s22, s22, 1
	s_addc_u32 s23, s23, 0
	s_add_u32 s2, s2, 8
	v_add3_u32 v13, v8, v13, v4
	s_addc_u32 s3, s3, 0
	v_mov_b32_e32 v4, s14
	s_add_u32 s6, s6, 8
	v_mov_b32_e32 v5, s15
	s_addc_u32 s7, s7, 0
	v_cmp_ge_u64_e32 vcc, s[22:23], v[4:5]
	s_add_u32 s20, s20, 8
	v_add3_u32 v2, v7, v2, v6
	s_addc_u32 s21, s21, 0
	s_cbranch_vccnz .LBB0_9
; %bb.7:                                ;   in Loop: Header=BB0_2 Depth=1
	v_mov_b32_e32 v5, v16
	v_mov_b32_e32 v6, v17
	s_branch .LBB0_2
.LBB0_8:
	v_mov_b32_e32 v13, v2
	v_mov_b32_e32 v17, v6
	;; [unrolled: 1-line block ×4, first 2 shown]
.LBB0_9:
	s_load_dwordx2 s[4:5], s[4:5], 0x28
	s_lshl_b64 s[6:7], s[14:15], 3
	s_add_u32 s2, s18, s6
	s_addc_u32 s3, s19, s7
                                        ; implicit-def: $vgpr14
                                        ; implicit-def: $vgpr4_vgpr5
	s_waitcnt lgkmcnt(0)
	v_cmp_gt_u64_e64 s[0:1], s[4:5], v[16:17]
	v_cmp_le_u64_e32 vcc, s[4:5], v[16:17]
	s_and_saveexec_b64 s[4:5], vcc
	s_xor_b64 s[4:5], exec, s[4:5]
; %bb.10:
	s_mov_b32 s14, 0x12f684c
	v_mul_hi_u32 v1, v0, s14
	v_mov_b32_e32 v15, 0
	v_mul_u32_u24_e32 v1, 0xd8, v1
	v_sub_u32_e32 v14, v0, v1
	v_mov_b32_e32 v4, v14
	v_mov_b32_e32 v5, v15
                                        ; implicit-def: $vgpr0
                                        ; implicit-def: $vgpr1_vgpr2
; %bb.11:
	s_or_saveexec_b64 s[4:5], s[4:5]
	s_load_dwordx2 s[2:3], s[2:3], 0x0
	s_xor_b64 exec, exec, s[4:5]
	s_cbranch_execz .LBB0_15
; %bb.12:
	s_add_u32 s6, s16, s6
	s_addc_u32 s7, s17, s7
	s_load_dwordx2 s[6:7], s[6:7], 0x0
	s_mov_b32 s14, 0x12f684c
	v_mul_hi_u32 v5, v0, s14
	v_lshlrev_b64 v[1:2], 4, v[1:2]
	v_mov_b32_e32 v15, 0
	s_waitcnt lgkmcnt(0)
	v_mul_lo_u32 v6, s7, v16
	v_mul_lo_u32 v7, s6, v17
	v_mad_u64_u32 v[3:4], s[6:7], s6, v16, 0
	v_mul_u32_u24_e32 v5, 0xd8, v5
	v_sub_u32_e32 v14, v0, v5
	v_add3_u32 v4, v4, v7, v6
	v_lshlrev_b64 v[3:4], 4, v[3:4]
	v_mov_b32_e32 v0, s9
	v_add_co_u32_e32 v3, vcc, s8, v3
	v_addc_co_u32_e32 v0, vcc, v0, v4, vcc
	v_add_co_u32_e32 v1, vcc, v3, v1
	v_addc_co_u32_e32 v0, vcc, v0, v2, vcc
	v_lshlrev_b32_e32 v64, 4, v14
	v_add_co_u32_e32 v10, vcc, v1, v64
	v_addc_co_u32_e32 v11, vcc, 0, v0, vcc
	s_movk_i32 s6, 0x1000
	v_add_co_u32_e32 v26, vcc, s6, v10
	v_addc_co_u32_e32 v27, vcc, 0, v11, vcc
	s_movk_i32 s6, 0x2000
	;; [unrolled: 3-line block ×7, first 2 shown]
	v_add_co_u32_e32 v60, vcc, s6, v10
	v_addc_co_u32_e32 v61, vcc, 0, v11, vcc
	v_add_co_u32_e32 v62, vcc, 0x8000, v10
	v_addc_co_u32_e32 v63, vcc, 0, v11, vcc
	global_load_dwordx4 v[2:5], v[10:11], off
	global_load_dwordx4 v[6:9], v[10:11], off offset:3456
	v_add_co_u32_e32 v10, vcc, 0x9000, v10
	global_load_dwordx4 v[18:21], v[26:27], off offset:2816
	global_load_dwordx4 v[22:25], v[28:29], off offset:2176
	s_nop 0
	global_load_dwordx4 v[26:29], v[34:35], off offset:1536
	global_load_dwordx4 v[30:33], v[36:37], off offset:896
	s_nop 0
	global_load_dwordx4 v[34:37], v[42:43], off offset:256
	global_load_dwordx4 v[38:41], v[42:43], off offset:3712
	v_addc_co_u32_e32 v11, vcc, 0, v11, vcc
	global_load_dwordx4 v[42:45], v[58:59], off offset:3072
	global_load_dwordx4 v[46:49], v[60:61], off offset:2432
	;; [unrolled: 1-line block ×4, first 2 shown]
	v_add_u32_e32 v10, 0, v64
	s_movk_i32 s6, 0xd7
	v_cmp_eq_u32_e32 vcc, s6, v14
	s_waitcnt vmcnt(11)
	ds_write_b128 v10, v[2:5]
	s_waitcnt vmcnt(10)
	ds_write_b128 v10, v[6:9] offset:3456
	s_waitcnt vmcnt(9)
	ds_write_b128 v10, v[18:21] offset:6912
	;; [unrolled: 2-line block ×11, first 2 shown]
	v_mov_b32_e32 v4, v14
	v_mov_b32_e32 v5, v15
	s_and_saveexec_b64 s[6:7], vcc
	s_cbranch_execz .LBB0_14
; %bb.13:
	v_add_co_u32_e32 v1, vcc, 0xa000, v1
	v_addc_co_u32_e32 v2, vcc, 0, v0, vcc
	global_load_dwordx4 v[0:3], v[1:2], off offset:512
	v_mov_b32_e32 v4, 0xd7
	v_mov_b32_e32 v5, 0
	;; [unrolled: 1-line block ×3, first 2 shown]
	s_waitcnt vmcnt(0)
	ds_write_b128 v15, v[0:3] offset:41472
.LBB0_14:
	s_or_b64 exec, exec, s[6:7]
.LBB0_15:
	s_or_b64 exec, exec, s[4:5]
	v_lshlrev_b32_e32 v0, 4, v14
	v_add_u32_e32 v54, 0, v0
	s_waitcnt lgkmcnt(0)
	s_barrier
	v_sub_u32_e32 v10, 0, v0
	ds_read_b64 v[6:7], v54
	ds_read_b64 v[8:9], v10 offset:41472
	s_add_u32 s6, s12, 0xa1a0
	v_lshlrev_b64 v[18:19], 4, v[4:5]
	s_addc_u32 s7, s13, 0
	v_cmp_ne_u32_e32 vcc, 0, v14
	s_waitcnt lgkmcnt(0)
	v_add_f64 v[0:1], v[6:7], v[8:9]
	v_add_f64 v[2:3], v[6:7], -v[8:9]
	s_and_saveexec_b64 s[4:5], vcc
	s_xor_b64 s[4:5], exec, s[4:5]
	s_cbranch_execz .LBB0_17
; %bb.16:
	v_mov_b32_e32 v1, s7
	v_add_co_u32_e32 v0, vcc, s6, v18
	v_addc_co_u32_e32 v1, vcc, v1, v19, vcc
	global_load_dwordx4 v[2:5], v[0:1], off
	ds_read_b64 v[0:1], v10 offset:41480
	ds_read_b64 v[20:21], v54 offset:8
	v_add_f64 v[22:23], v[6:7], v[8:9]
	v_add_f64 v[8:9], v[6:7], -v[8:9]
	s_waitcnt lgkmcnt(0)
	v_add_f64 v[24:25], v[0:1], v[20:21]
	v_add_f64 v[0:1], v[20:21], -v[0:1]
	s_waitcnt vmcnt(0)
	v_fma_f64 v[6:7], -v[8:9], v[4:5], v[22:23]
	v_fma_f64 v[20:21], v[24:25], v[4:5], -v[0:1]
	v_fma_f64 v[22:23], v[8:9], v[4:5], v[22:23]
	v_fma_f64 v[26:27], v[24:25], v[4:5], v[0:1]
	;; [unrolled: 1-line block ×4, first 2 shown]
	v_fma_f64 v[0:1], -v[24:25], v[2:3], v[22:23]
	v_fma_f64 v[2:3], v[8:9], v[2:3], v[26:27]
	ds_write_b128 v10, v[4:7] offset:41472
.LBB0_17:
	s_andn2_saveexec_b64 s[4:5], s[4:5]
	s_cbranch_execz .LBB0_19
; %bb.18:
	v_mov_b32_e32 v8, 0
	ds_read_b128 v[4:7], v8 offset:20736
	s_waitcnt lgkmcnt(0)
	v_add_f64 v[4:5], v[4:5], v[4:5]
	v_mul_f64 v[6:7], v[6:7], -2.0
	ds_write_b128 v8, v[4:7] offset:20736
.LBB0_19:
	s_or_b64 exec, exec, s[4:5]
	v_mov_b32_e32 v15, 0
	v_lshlrev_b64 v[20:21], 4, v[14:15]
	v_mov_b32_e32 v4, s7
	v_add_co_u32_e32 v34, vcc, s6, v20
	v_addc_co_u32_e32 v35, vcc, v4, v21, vcc
	global_load_dwordx4 v[4:7], v[34:35], off offset:3456
	s_movk_i32 s4, 0x1000
	v_add_co_u32_e32 v8, vcc, s4, v34
	v_addc_co_u32_e32 v9, vcc, 0, v35, vcc
	global_load_dwordx4 v[22:25], v[8:9], off offset:2816
	ds_write_b128 v54, v[0:3]
	ds_read_b128 v[0:3], v54 offset:3456
	ds_read_b128 v[26:29], v10 offset:38016
	s_movk_i32 s4, 0x2000
	v_add_co_u32_e32 v8, vcc, s4, v34
	v_addc_co_u32_e32 v9, vcc, 0, v35, vcc
	s_waitcnt lgkmcnt(0)
	v_add_f64 v[30:31], v[0:1], v[26:27]
	v_add_f64 v[32:33], v[28:29], v[2:3]
	v_add_f64 v[36:37], v[0:1], -v[26:27]
	v_add_f64 v[26:27], v[2:3], -v[28:29]
	global_load_dwordx4 v[0:3], v[8:9], off offset:2176
	s_movk_i32 s4, 0x3000
	s_mov_b32 s6, 0xe8584caa
	s_movk_i32 s8, 0xab
	s_mov_b32 s7, 0x3febb67a
	s_mov_b32 s5, 0xbfebb67a
	s_waitcnt vmcnt(2)
	v_fma_f64 v[8:9], v[36:37], v[6:7], v[30:31]
	v_fma_f64 v[28:29], v[32:33], v[6:7], v[26:27]
	v_fma_f64 v[30:31], -v[36:37], v[6:7], v[30:31]
	v_fma_f64 v[38:39], v[32:33], v[6:7], -v[26:27]
	v_fma_f64 v[6:7], -v[32:33], v[4:5], v[8:9]
	v_fma_f64 v[8:9], v[36:37], v[4:5], v[28:29]
	v_fma_f64 v[26:27], v[32:33], v[4:5], v[30:31]
	;; [unrolled: 1-line block ×3, first 2 shown]
	ds_write_b128 v54, v[6:9] offset:3456
	ds_write_b128 v10, v[26:29] offset:38016
	v_add_co_u32_e32 v8, vcc, s4, v34
	v_addc_co_u32_e32 v9, vcc, 0, v35, vcc
	ds_read_b128 v[4:7], v54 offset:6912
	ds_read_b128 v[26:29], v10 offset:34560
	global_load_dwordx4 v[30:33], v[8:9], off offset:1536
	s_movk_i32 s4, 0x4000
	s_waitcnt lgkmcnt(0)
	v_add_f64 v[8:9], v[4:5], v[26:27]
	v_add_f64 v[36:37], v[28:29], v[6:7]
	v_add_f64 v[26:27], v[4:5], -v[26:27]
	v_add_f64 v[4:5], v[6:7], -v[28:29]
	s_waitcnt vmcnt(2)
	v_fma_f64 v[6:7], v[26:27], v[24:25], v[8:9]
	v_fma_f64 v[28:29], v[36:37], v[24:25], v[4:5]
	v_fma_f64 v[8:9], -v[26:27], v[24:25], v[8:9]
	v_fma_f64 v[38:39], v[36:37], v[24:25], -v[4:5]
	v_fma_f64 v[4:5], -v[36:37], v[22:23], v[6:7]
	v_fma_f64 v[6:7], v[26:27], v[22:23], v[28:29]
	v_fma_f64 v[24:25], v[36:37], v[22:23], v[8:9]
	;; [unrolled: 1-line block ×3, first 2 shown]
	v_add_co_u32_e32 v8, vcc, s4, v34
	ds_write_b128 v54, v[4:7] offset:6912
	ds_write_b128 v10, v[24:27] offset:34560
	v_addc_co_u32_e32 v9, vcc, 0, v35, vcc
	ds_read_b128 v[4:7], v54 offset:10368
	ds_read_b128 v[22:25], v10 offset:31104
	global_load_dwordx4 v[26:29], v[8:9], off offset:896
	s_movk_i32 s4, 0x50
	s_waitcnt lgkmcnt(0)
	v_add_f64 v[8:9], v[4:5], v[22:23]
	v_add_f64 v[34:35], v[24:25], v[6:7]
	v_add_f64 v[22:23], v[4:5], -v[22:23]
	v_add_f64 v[4:5], v[6:7], -v[24:25]
	s_waitcnt vmcnt(2)
	v_fma_f64 v[6:7], v[22:23], v[2:3], v[8:9]
	v_fma_f64 v[24:25], v[34:35], v[2:3], v[4:5]
	v_fma_f64 v[8:9], -v[22:23], v[2:3], v[8:9]
	v_fma_f64 v[36:37], v[34:35], v[2:3], -v[4:5]
	v_fma_f64 v[2:3], -v[34:35], v[0:1], v[6:7]
	v_fma_f64 v[4:5], v[22:23], v[0:1], v[24:25]
	v_fma_f64 v[6:7], v[34:35], v[0:1], v[8:9]
	;; [unrolled: 1-line block ×3, first 2 shown]
	ds_write_b128 v54, v[2:5] offset:10368
	ds_write_b128 v10, v[6:9] offset:31104
	ds_read_b128 v[0:3], v54 offset:13824
	ds_read_b128 v[4:7], v10 offset:27648
	s_waitcnt lgkmcnt(0)
	v_add_f64 v[8:9], v[0:1], v[4:5]
	v_add_f64 v[22:23], v[6:7], v[2:3]
	v_add_f64 v[24:25], v[0:1], -v[4:5]
	v_add_f64 v[0:1], v[2:3], -v[6:7]
	s_waitcnt vmcnt(1)
	v_fma_f64 v[2:3], v[24:25], v[32:33], v[8:9]
	v_fma_f64 v[4:5], v[22:23], v[32:33], v[0:1]
	v_fma_f64 v[6:7], -v[24:25], v[32:33], v[8:9]
	v_fma_f64 v[8:9], v[22:23], v[32:33], -v[0:1]
	v_fma_f64 v[0:1], -v[22:23], v[30:31], v[2:3]
	v_fma_f64 v[2:3], v[24:25], v[30:31], v[4:5]
	v_fma_f64 v[4:5], v[22:23], v[30:31], v[6:7]
	;; [unrolled: 1-line block ×3, first 2 shown]
	ds_write_b128 v54, v[0:3] offset:13824
	ds_write_b128 v10, v[4:7] offset:27648
	ds_read_b128 v[0:3], v54 offset:17280
	ds_read_b128 v[4:7], v10 offset:24192
	s_waitcnt lgkmcnt(0)
	v_add_f64 v[8:9], v[0:1], v[4:5]
	v_add_f64 v[22:23], v[6:7], v[2:3]
	v_add_f64 v[24:25], v[0:1], -v[4:5]
	v_add_f64 v[0:1], v[2:3], -v[6:7]
	s_waitcnt vmcnt(0)
	v_fma_f64 v[2:3], v[24:25], v[28:29], v[8:9]
	v_fma_f64 v[4:5], v[22:23], v[28:29], v[0:1]
	v_fma_f64 v[6:7], -v[24:25], v[28:29], v[8:9]
	v_fma_f64 v[8:9], v[22:23], v[28:29], -v[0:1]
	v_fma_f64 v[0:1], -v[22:23], v[26:27], v[2:3]
	v_fma_f64 v[2:3], v[24:25], v[26:27], v[4:5]
	v_fma_f64 v[4:5], v[22:23], v[26:27], v[6:7]
	v_fma_f64 v[6:7], v[24:25], v[26:27], v[8:9]
	ds_write_b128 v54, v[0:3] offset:17280
	ds_write_b128 v10, v[4:7] offset:24192
	s_waitcnt lgkmcnt(0)
	s_barrier
	s_barrier
	ds_read_b128 v[0:3], v54 offset:13824
	ds_read_b128 v[4:7], v54
	ds_read_b128 v[8:11], v54 offset:3456
	ds_read_b128 v[32:35], v54 offset:17280
	;; [unrolled: 1-line block ×6, first 2 shown]
	s_waitcnt lgkmcnt(6)
	v_add_f64 v[36:37], v[6:7], v[2:3]
	s_waitcnt lgkmcnt(3)
	v_add_f64 v[55:56], v[0:1], v[26:27]
	ds_read_b128 v[42:45], v54 offset:34560
	v_add_f64 v[30:31], v[4:5], v[0:1]
	v_add_f64 v[57:58], v[2:3], v[28:29]
	v_add_f64 v[24:25], v[2:3], -v[28:29]
	v_add_f64 v[22:23], v[0:1], -v[26:27]
	s_waitcnt lgkmcnt(1)
	v_add_f64 v[0:1], v[50:51], v[38:39]
	v_add_f64 v[61:62], v[36:37], v[28:29]
	v_fma_f64 v[28:29], v[55:56], -0.5, v[4:5]
	s_waitcnt lgkmcnt(0)
	v_add_f64 v[4:5], v[40:41], v[44:45]
	v_add_f64 v[59:60], v[30:31], v[26:27]
	;; [unrolled: 1-line block ×4, first 2 shown]
	v_fma_f64 v[26:27], v[57:58], -0.5, v[6:7]
	v_add_f64 v[36:37], v[40:41], -v[44:45]
	v_add_f64 v[30:31], v[38:39], -v[42:43]
	v_add_f64 v[6:7], v[8:9], v[32:33]
	v_add_f64 v[65:66], v[0:1], v[42:43]
	;; [unrolled: 1-line block ×4, first 2 shown]
	v_fma_f64 v[40:41], v[4:5], -0.5, v[52:53]
	v_add_f64 v[4:5], v[34:35], v[48:49]
	v_add_f64 v[67:68], v[2:3], v[44:45]
	v_fma_f64 v[44:45], v[63:64], -0.5, v[50:51]
	v_add_f64 v[63:64], v[6:7], v[46:47]
	v_add_f64 v[34:35], v[34:35], -v[48:49]
	v_add_f64 v[69:70], v[0:1], v[48:49]
	ds_read_b128 v[0:3], v54 offset:10368
	v_fma_f64 v[42:43], v[38:39], -0.5, v[8:9]
	v_fma_f64 v[38:39], v[4:5], -0.5, v[10:11]
	ds_read_b128 v[8:11], v54 offset:38016
	ds_read_b128 v[4:7], v54 offset:24192
	v_add_f64 v[32:33], v[32:33], -v[46:47]
	s_waitcnt lgkmcnt(0)
	s_barrier
	v_add_f64 v[48:49], v[0:1], v[4:5]
	v_add_f64 v[52:53], v[2:3], v[6:7]
	;; [unrolled: 1-line block ×4, first 2 shown]
	v_add_f64 v[50:51], v[6:7], -v[10:11]
	v_add_f64 v[46:47], v[4:5], -v[8:9]
	v_add_f64 v[71:72], v[48:49], v[8:9]
	v_add_f64 v[73:74], v[52:53], v[10:11]
	v_add_f64 v[8:9], v[59:60], -v[65:66]
	v_add_f64 v[10:11], v[61:62], -v[67:68]
	v_fma_f64 v[48:49], v[57:58], -0.5, v[2:3]
	v_add_f64 v[57:58], v[61:62], v[67:68]
	v_mad_u32_u24 v62, v14, s4, v54
	s_mov_b32 s4, s6
	v_fma_f64 v[52:53], v[55:56], -0.5, v[0:1]
	v_add_f64 v[4:5], v[63:64], v[71:72]
	v_add_f64 v[6:7], v[69:70], v[73:74]
	ds_write_b128 v62, v[8:11] offset:48
	v_mul_lo_u16_sdwa v8, v14, s8 dst_sel:DWORD dst_unused:UNUSED_PAD src0_sel:BYTE_0 src1_sel:DWORD
	v_add_f64 v[2:3], v[69:70], -v[73:74]
	v_lshrrev_b16_e32 v74, 10, v8
	v_fma_f64 v[8:9], v[36:37], s[6:7], v[44:45]
	v_fma_f64 v[10:11], v[36:37], s[4:5], v[44:45]
	;; [unrolled: 1-line block ×7, first 2 shown]
	v_add_f64 v[55:56], v[59:60], v[65:66]
	v_add_f64 v[0:1], v[63:64], -v[71:72]
	v_fma_f64 v[26:27], v[30:31], s[6:7], v[40:41]
	v_fma_f64 v[30:31], v[46:47], s[4:5], v[48:49]
	ds_write_b128 v62, v[4:7] offset:20736
	v_fma_f64 v[5:6], v[50:51], s[6:7], v[52:53]
	v_fma_f64 v[40:41], v[34:35], s[6:7], v[42:43]
	;; [unrolled: 1-line block ×3, first 2 shown]
	v_mul_f64 v[34:35], v[22:23], s[6:7]
	ds_write_b128 v62, v[55:58]
	v_fma_f64 v[50:51], v[50:51], s[4:5], v[52:53]
	v_fma_f64 v[52:53], v[32:33], s[4:5], v[38:39]
	v_fma_f64 v[56:57], v[32:33], s[6:7], v[38:39]
	v_mul_f64 v[32:33], v[8:9], s[4:5]
	v_fma_f64 v[38:39], v[46:47], s[6:7], v[48:49]
	v_mul_f64 v[46:47], v[10:11], -0.5
	ds_write_b128 v62, v[0:3] offset:20784
	v_mul_f64 v[0:1], v[26:27], -0.5
	v_mul_f64 v[2:3], v[30:31], s[6:7]
	v_fma_f64 v[7:8], v[8:9], 0.5, v[34:35]
	v_mul_f64 v[34:35], v[5:6], s[4:5]
	v_fma_f64 v[22:23], v[22:23], 0.5, v[32:33]
	v_mul_f64 v[32:33], v[50:51], -0.5
	v_fma_f64 v[26:27], v[26:27], s[6:7], v[46:47]
	v_mul_f64 v[46:47], v[38:39], -0.5
	v_fma_f64 v[9:10], v[10:11], s[4:5], v[0:1]
	v_mul_lo_u16_e32 v58, 6, v74
	v_sub_u16_e32 v4, v14, v58
	v_fma_f64 v[48:49], v[5:6], 0.5, v[2:3]
	v_fma_f64 v[58:59], v[30:31], 0.5, v[34:35]
	v_fma_f64 v[60:61], v[38:39], s[6:7], v[32:33]
	v_mov_b32_e32 v55, 5
	v_fma_f64 v[46:47], v[50:51], s[4:5], v[46:47]
	v_mul_u32_u24_sdwa v0, v4, v55 dst_sel:DWORD dst_unused:UNUSED_PAD src0_sel:BYTE_0 src1_sel:DWORD
	v_lshlrev_b32_e32 v11, 4, v0
	v_add_f64 v[0:1], v[36:37], v[7:8]
	v_add_f64 v[2:3], v[24:25], v[22:23]
	v_add_f64 v[5:6], v[36:37], -v[7:8]
	v_add_f64 v[7:8], v[24:25], -v[22:23]
	v_add_f64 v[22:23], v[28:29], v[26:27]
	v_add_f64 v[24:25], v[44:45], v[9:10]
	v_add_f64 v[26:27], v[28:29], -v[26:27]
	v_add_f64 v[28:29], v[44:45], -v[9:10]
	v_add_f64 v[30:31], v[40:41], v[48:49]
	v_add_f64 v[32:33], v[52:53], v[58:59]
	v_add_f64 v[34:35], v[40:41], -v[48:49]
	v_add_f64 v[38:39], v[42:43], v[60:61]
	v_add_f64 v[40:41], v[56:57], v[46:47]
	v_add_f64 v[36:37], v[52:53], -v[58:59]
	v_add_f64 v[42:43], v[42:43], -v[60:61]
	;; [unrolled: 1-line block ×3, first 2 shown]
	ds_write_b128 v62, v[0:3] offset:16
	ds_write_b128 v62, v[22:25] offset:32
	;; [unrolled: 1-line block ×8, first 2 shown]
	s_waitcnt lgkmcnt(0)
	s_barrier
	global_load_dwordx4 v[5:8], v11, s[12:13]
	global_load_dwordx4 v[22:25], v11, s[12:13] offset:16
	global_load_dwordx4 v[26:29], v11, s[12:13] offset:32
	;; [unrolled: 1-line block ×4, first 2 shown]
	s_mov_b32 s8, 0xaaab
	v_add_u32_e32 v0, 0xd8, v14
	v_mul_u32_u24_sdwa v1, v0, s8 dst_sel:DWORD dst_unused:UNUSED_PAD src0_sel:WORD_0 src1_sel:DWORD
	v_lshrrev_b32_e32 v2, 18, v1
	v_mul_lo_u16_e32 v1, 6, v2
	v_sub_u16_e32 v3, v0, v1
	v_mul_u32_u24_e32 v1, 5, v3
	v_lshlrev_b32_e32 v1, 4, v1
	ds_read_b128 v[38:41], v54 offset:6912
	global_load_dwordx4 v[42:45], v1, s[12:13]
	v_mul_u32_u24_e32 v11, 0x240, v74
	v_mul_u32_u24_e32 v2, 0x240, v2
	v_lshlrev_b32_e32 v3, 4, v3
	v_add3_u32 v2, 0, v2, v3
	s_mov_b32 s8, 0xe38f
	s_waitcnt vmcnt(5) lgkmcnt(0)
	v_mul_f64 v[46:47], v[40:41], v[7:8]
	v_mul_f64 v[48:49], v[38:39], v[7:8]
	ds_read_b128 v[7:10], v54 offset:13824
	v_fma_f64 v[46:47], v[38:39], v[5:6], -v[46:47]
	v_fma_f64 v[48:49], v[40:41], v[5:6], v[48:49]
	global_load_dwordx4 v[38:41], v1, s[12:13] offset:16
	s_waitcnt vmcnt(5) lgkmcnt(0)
	v_mul_f64 v[5:6], v[9:10], v[24:25]
	v_mul_f64 v[24:25], v[7:8], v[24:25]
	v_fma_f64 v[50:51], v[7:8], v[22:23], -v[5:6]
	ds_read_b128 v[5:8], v54 offset:20736
	v_fma_f64 v[9:10], v[9:10], v[22:23], v[24:25]
	s_waitcnt vmcnt(4) lgkmcnt(0)
	v_mul_f64 v[22:23], v[7:8], v[28:29]
	v_mul_f64 v[24:25], v[5:6], v[28:29]
	v_fma_f64 v[52:53], v[5:6], v[26:27], -v[22:23]
	v_fma_f64 v[56:57], v[7:8], v[26:27], v[24:25]
	ds_read_b128 v[5:8], v54 offset:27648
	s_waitcnt vmcnt(3) lgkmcnt(0)
	v_mul_f64 v[22:23], v[7:8], v[32:33]
	v_mul_f64 v[24:25], v[5:6], v[32:33]
	v_fma_f64 v[32:33], v[5:6], v[30:31], -v[22:23]
	v_fma_f64 v[30:31], v[7:8], v[30:31], v[24:25]
	ds_read_b128 v[5:8], v54 offset:34560
	;; [unrolled: 6-line block ×4, first 2 shown]
	s_waitcnt vmcnt(0) lgkmcnt(0)
	v_mul_f64 v[22:23], v[7:8], v[40:41]
	v_mul_f64 v[24:25], v[5:6], v[40:41]
	v_fma_f64 v[40:41], v[5:6], v[38:39], -v[22:23]
	v_fma_f64 v[38:39], v[7:8], v[38:39], v[24:25]
	global_load_dwordx4 v[5:8], v1, s[12:13] offset:32
	ds_read_b128 v[22:25], v54 offset:24192
	s_waitcnt vmcnt(0) lgkmcnt(0)
	v_mul_f64 v[26:27], v[24:25], v[7:8]
	v_mul_f64 v[7:8], v[22:23], v[7:8]
	v_fma_f64 v[58:59], v[22:23], v[5:6], -v[26:27]
	v_fma_f64 v[60:61], v[24:25], v[5:6], v[7:8]
	global_load_dwordx4 v[5:8], v1, s[12:13] offset:48
	ds_read_b128 v[22:25], v54 offset:31104
	;; [unrolled: 7-line block ×3, first 2 shown]
	v_mov_b32_e32 v1, 4
	v_lshlrev_b32_sdwa v4, v1, v4 dst_sel:DWORD dst_unused:UNUSED_PAD src0_sel:DWORD src1_sel:BYTE_0
	v_add3_u32 v74, 0, v11, v4
	s_waitcnt vmcnt(0) lgkmcnt(0)
	v_mul_f64 v[26:27], v[24:25], v[7:8]
	v_mul_f64 v[7:8], v[22:23], v[7:8]
	v_fma_f64 v[66:67], v[22:23], v[5:6], -v[26:27]
	v_add_f64 v[22:23], v[50:51], v[32:33]
	v_fma_f64 v[68:69], v[24:25], v[5:6], v[7:8]
	ds_read_b128 v[5:8], v54
	s_waitcnt lgkmcnt(0)
	v_fma_f64 v[70:71], v[22:23], -0.5, v[5:6]
	v_add_f64 v[22:23], v[9:10], v[30:31]
	v_add_f64 v[5:6], v[5:6], v[50:51]
	v_fma_f64 v[72:73], v[22:23], -0.5, v[7:8]
	v_add_f64 v[22:23], v[5:6], v[32:33]
	v_add_f64 v[5:6], v[46:47], v[52:53]
	;; [unrolled: 1-line block ×3, first 2 shown]
	v_add_f64 v[32:33], v[50:51], -v[32:33]
	v_add_f64 v[50:51], v[58:59], -v[66:67]
	v_add_f64 v[26:27], v[5:6], v[36:37]
	v_add_f64 v[5:6], v[48:49], v[56:57]
	;; [unrolled: 1-line block ×3, first 2 shown]
	v_add_f64 v[30:31], v[9:10], -v[30:31]
	v_add_f64 v[28:29], v[5:6], v[34:35]
	v_add_f64 v[5:6], v[22:23], v[26:27]
	v_add_f64 v[22:23], v[22:23], -v[26:27]
	v_add_f64 v[7:8], v[24:25], v[28:29]
	v_add_f64 v[24:25], v[24:25], -v[28:29]
	ds_read_b128 v[26:29], v54 offset:3456
	s_waitcnt lgkmcnt(0)
	s_barrier
	ds_write_b128 v74, v[5:8]
	ds_write_b128 v74, v[22:25] offset:288
	v_add_f64 v[6:7], v[56:57], v[34:35]
	v_add_f64 v[4:5], v[52:53], v[36:37]
	v_add_f64 v[22:23], v[52:53], -v[36:37]
	v_add_f64 v[34:35], v[56:57], -v[34:35]
	;; [unrolled: 1-line block ×3, first 2 shown]
	v_fma_f64 v[24:25], v[6:7], -0.5, v[48:49]
	v_fma_f64 v[36:37], v[4:5], -0.5, v[46:47]
	v_fma_f64 v[48:49], v[32:33], s[4:5], v[72:73]
	v_fma_f64 v[46:47], v[30:31], s[6:7], v[70:71]
	;; [unrolled: 1-line block ×8, first 2 shown]
	v_mul_f64 v[8:9], v[4:5], s[6:7]
	v_mul_f64 v[24:25], v[34:35], -0.5
	v_fma_f64 v[8:9], v[6:7], 0.5, v[8:9]
	v_mul_f64 v[6:7], v[6:7], s[4:5]
	v_fma_f64 v[36:37], v[22:23], s[6:7], v[24:25]
	v_mul_f64 v[22:23], v[22:23], -0.5
	v_fma_f64 v[10:11], v[4:5], 0.5, v[6:7]
	v_add_f64 v[4:5], v[46:47], v[8:9]
	v_add_f64 v[8:9], v[46:47], -v[8:9]
	v_add_f64 v[46:47], v[44:45], v[58:59]
	v_fma_f64 v[34:35], v[34:35], s[4:5], v[22:23]
	v_add_f64 v[22:23], v[30:31], v[36:37]
	v_add_f64 v[30:31], v[30:31], -v[36:37]
	v_add_f64 v[36:37], v[38:39], v[64:65]
	v_add_f64 v[6:7], v[48:49], v[10:11]
	v_add_f64 v[10:11], v[48:49], -v[10:11]
	v_add_f64 v[48:49], v[58:59], v[66:67]
	v_add_f64 v[46:47], v[46:47], v[66:67]
	;; [unrolled: 1-line block ×3, first 2 shown]
	v_add_f64 v[32:33], v[32:33], -v[34:35]
	v_add_f64 v[34:35], v[40:41], v[62:63]
	v_fma_f64 v[36:37], v[36:37], -0.5, v[28:29]
	v_add_f64 v[28:29], v[28:29], v[38:39]
	v_add_f64 v[38:39], v[38:39], -v[64:65]
	v_fma_f64 v[44:45], v[48:49], -0.5, v[44:45]
	v_add_f64 v[48:49], v[60:61], v[68:69]
	ds_write_b128 v74, v[8:11] offset:384
	ds_write_b128 v74, v[30:33] offset:480
	v_fma_f64 v[34:35], v[34:35], -0.5, v[26:27]
	v_add_f64 v[26:27], v[26:27], v[40:41]
	v_add_f64 v[40:41], v[40:41], -v[62:63]
	v_add_f64 v[28:29], v[28:29], v[64:65]
	v_fma_f64 v[56:57], v[52:53], s[6:7], v[44:45]
	v_fma_f64 v[48:49], v[48:49], -0.5, v[42:43]
	v_fma_f64 v[44:45], v[52:53], s[4:5], v[44:45]
	v_add_f64 v[42:43], v[42:43], v[60:61]
	ds_write_b128 v74, v[4:7] offset:96
	v_add_f64 v[26:27], v[26:27], v[62:63]
	ds_write_b128 v74, v[22:25] offset:192
	v_mul_f64 v[58:59], v[56:57], s[4:5]
	v_fma_f64 v[52:53], v[50:51], s[4:5], v[48:49]
	v_fma_f64 v[48:49], v[50:51], s[6:7], v[48:49]
	v_mul_f64 v[8:9], v[44:45], -0.5
	v_add_f64 v[42:43], v[42:43], v[68:69]
	v_add_f64 v[4:5], v[26:27], v[46:47]
	v_mul_f64 v[50:51], v[52:53], s[6:7]
	v_mul_f64 v[10:11], v[48:49], -0.5
	v_fma_f64 v[32:33], v[52:53], 0.5, v[58:59]
	v_fma_f64 v[52:53], v[40:41], s[4:5], v[36:37]
	v_fma_f64 v[36:37], v[40:41], s[6:7], v[36:37]
	v_add_f64 v[6:7], v[28:29], v[42:43]
	v_fma_f64 v[30:31], v[56:57], 0.5, v[50:51]
	v_fma_f64 v[50:51], v[38:39], s[6:7], v[34:35]
	v_fma_f64 v[34:35], v[38:39], s[4:5], v[34:35]
	;; [unrolled: 1-line block ×4, first 2 shown]
	v_add_f64 v[24:25], v[52:53], v[32:33]
	v_add_f64 v[8:9], v[26:27], -v[46:47]
	v_add_f64 v[10:11], v[28:29], -v[42:43]
	;; [unrolled: 1-line block ×3, first 2 shown]
	v_add_f64 v[22:23], v[50:51], v[30:31]
	v_add_f64 v[26:27], v[50:51], -v[30:31]
	v_add_f64 v[30:31], v[34:35], v[38:39]
	v_add_f64 v[32:33], v[36:37], v[40:41]
	v_add_f64 v[34:35], v[34:35], -v[38:39]
	v_add_f64 v[36:37], v[36:37], -v[40:41]
	ds_write_b128 v2, v[4:7]
	ds_write_b128 v2, v[22:25] offset:96
	ds_write_b128 v2, v[30:33] offset:192
	;; [unrolled: 1-line block ×5, first 2 shown]
	v_mov_b32_e32 v2, 57
	v_mul_lo_u16_sdwa v2, v14, v2 dst_sel:DWORD dst_unused:UNUSED_PAD src0_sel:BYTE_0 src1_sel:DWORD
	v_lshrrev_b16_e32 v11, 11, v2
	v_mul_lo_u16_e32 v2, 36, v11
	v_sub_u16_e32 v71, v14, v2
	v_mul_u32_u24_sdwa v2, v71, v55 dst_sel:DWORD dst_unused:UNUSED_PAD src0_sel:BYTE_0 src1_sel:DWORD
	v_lshlrev_b32_e32 v2, 4, v2
	s_waitcnt lgkmcnt(0)
	s_barrier
	global_load_dwordx4 v[3:6], v2, s[12:13] offset:480
	global_load_dwordx4 v[7:10], v2, s[12:13] offset:496
	;; [unrolled: 1-line block ×5, first 2 shown]
	v_mul_u32_u24_sdwa v2, v0, s8 dst_sel:DWORD dst_unused:UNUSED_PAD src0_sel:WORD_0 src1_sel:DWORD
	v_lshrrev_b32_e32 v2, 21, v2
	v_mul_lo_u16_e32 v34, 36, v2
	v_sub_u16_e32 v0, v0, v34
	v_mul_u32_u24_e32 v34, 5, v0
	v_lshlrev_b32_e32 v65, 4, v34
	global_load_dwordx4 v[34:37], v65, s[12:13] offset:480
	global_load_dwordx4 v[46:49], v65, s[12:13] offset:496
	ds_read_b128 v[38:41], v54 offset:6912
	ds_read_b128 v[42:45], v54 offset:13824
	v_lshlrev_b32_sdwa v1, v1, v71 dst_sel:DWORD dst_unused:UNUSED_PAD src0_sel:DWORD src1_sel:BYTE_0
	v_mul_u32_u24_e32 v11, 0xd80, v11
	v_add3_u32 v1, 0, v11, v1
	v_lshlrev_b32_e32 v0, 4, v0
	s_waitcnt vmcnt(6) lgkmcnt(1)
	v_mul_f64 v[50:51], v[40:41], v[5:6]
	v_mul_f64 v[5:6], v[38:39], v[5:6]
	v_fma_f64 v[38:39], v[38:39], v[3:4], -v[50:51]
	s_waitcnt vmcnt(5) lgkmcnt(0)
	v_mul_f64 v[50:51], v[44:45], v[9:10]
	v_mul_f64 v[9:10], v[42:43], v[9:10]
	v_fma_f64 v[40:41], v[40:41], v[3:4], v[5:6]
	ds_read_b128 v[3:6], v54 offset:20736
	v_fma_f64 v[42:43], v[42:43], v[7:8], -v[50:51]
	v_fma_f64 v[44:45], v[44:45], v[7:8], v[9:10]
	global_load_dwordx4 v[7:10], v65, s[12:13] offset:512
	s_waitcnt vmcnt(5) lgkmcnt(0)
	v_mul_f64 v[50:51], v[5:6], v[24:25]
	v_mul_f64 v[24:25], v[3:4], v[24:25]
	v_fma_f64 v[50:51], v[3:4], v[22:23], -v[50:51]
	v_fma_f64 v[22:23], v[5:6], v[22:23], v[24:25]
	ds_read_b128 v[3:6], v54 offset:27648
	s_waitcnt vmcnt(4) lgkmcnt(0)
	v_mul_f64 v[24:25], v[5:6], v[28:29]
	v_mul_f64 v[28:29], v[3:4], v[28:29]
	v_fma_f64 v[24:25], v[3:4], v[26:27], -v[24:25]
	v_fma_f64 v[26:27], v[5:6], v[26:27], v[28:29]
	ds_read_b128 v[3:6], v54 offset:34560
	;; [unrolled: 6-line block ×5, first 2 shown]
	s_waitcnt vmcnt(0) lgkmcnt(0)
	v_mul_f64 v[32:33], v[5:6], v[9:10]
	v_mul_f64 v[9:10], v[3:4], v[9:10]
	v_fma_f64 v[57:58], v[3:4], v[7:8], -v[32:33]
	v_fma_f64 v[59:60], v[5:6], v[7:8], v[9:10]
	global_load_dwordx4 v[3:6], v65, s[12:13] offset:528
	ds_read_b128 v[7:10], v54 offset:31104
	s_waitcnt vmcnt(0) lgkmcnt(0)
	v_mul_f64 v[32:33], v[9:10], v[5:6]
	v_mul_f64 v[5:6], v[7:8], v[5:6]
	v_fma_f64 v[61:62], v[7:8], v[3:4], -v[32:33]
	v_fma_f64 v[63:64], v[9:10], v[3:4], v[5:6]
	global_load_dwordx4 v[3:6], v65, s[12:13] offset:544
	ds_read_b128 v[7:10], v54 offset:38016
	s_waitcnt vmcnt(0) lgkmcnt(0)
	v_mul_f64 v[32:33], v[9:10], v[5:6]
	v_mul_f64 v[5:6], v[7:8], v[5:6]
	v_fma_f64 v[65:66], v[7:8], v[3:4], -v[32:33]
	v_add_f64 v[7:8], v[42:43], v[24:25]
	v_fma_f64 v[67:68], v[9:10], v[3:4], v[5:6]
	ds_read_b128 v[3:6], v54
	s_waitcnt lgkmcnt(0)
	v_fma_f64 v[32:33], v[7:8], -0.5, v[3:4]
	v_add_f64 v[7:8], v[44:45], v[26:27]
	v_add_f64 v[3:4], v[3:4], v[42:43]
	v_add_f64 v[42:43], v[42:43], -v[24:25]
	v_fma_f64 v[34:35], v[7:8], -0.5, v[5:6]
	v_add_f64 v[7:8], v[3:4], v[24:25]
	v_add_f64 v[3:4], v[38:39], v[50:51]
	;; [unrolled: 1-line block ×3, first 2 shown]
	v_add_f64 v[44:45], v[44:45], -v[26:27]
	v_add_f64 v[36:37], v[3:4], v[28:29]
	v_add_f64 v[3:4], v[40:41], v[22:23]
	;; [unrolled: 1-line block ×5, first 2 shown]
	v_add_f64 v[7:8], v[7:8], -v[36:37]
	v_add_f64 v[36:37], v[22:23], v[30:31]
	v_add_f64 v[30:31], v[22:23], -v[30:31]
	v_add_f64 v[5:6], v[9:10], v[69:70]
	v_add_f64 v[9:10], v[9:10], -v[69:70]
	v_fma_f64 v[69:70], v[42:43], s[4:5], v[34:35]
	v_fma_f64 v[36:37], v[36:37], -0.5, v[40:41]
	v_add_f64 v[40:41], v[50:51], v[28:29]
	v_add_f64 v[50:51], v[50:51], -v[28:29]
	v_fma_f64 v[38:39], v[40:41], -0.5, v[38:39]
	v_fma_f64 v[22:23], v[50:51], s[4:5], v[36:37]
	v_fma_f64 v[40:41], v[44:45], s[6:7], v[32:33]
	;; [unrolled: 1-line block ×3, first 2 shown]
	v_mul_f64 v[26:27], v[22:23], s[6:7]
	v_fma_f64 v[30:31], v[30:31], s[4:5], v[38:39]
	v_fma_f64 v[38:39], v[44:45], s[4:5], v[32:33]
	;; [unrolled: 1-line block ×3, first 2 shown]
	v_add_f64 v[44:45], v[48:49], -v[61:62]
	v_fma_f64 v[26:27], v[24:25], 0.5, v[26:27]
	v_mul_f64 v[24:25], v[24:25], s[4:5]
	v_fma_f64 v[28:29], v[22:23], 0.5, v[24:25]
	v_add_f64 v[22:23], v[40:41], v[26:27]
	v_add_f64 v[26:27], v[40:41], -v[26:27]
	v_fma_f64 v[40:41], v[42:43], s[6:7], v[34:35]
	v_mul_f64 v[34:35], v[30:31], -0.5
	v_add_f64 v[42:43], v[46:47], -v[63:64]
	v_add_f64 v[24:25], v[69:70], v[28:29]
	v_add_f64 v[28:29], v[69:70], -v[28:29]
	v_fma_f64 v[34:35], v[32:33], s[6:7], v[34:35]
	v_mul_f64 v[32:33], v[32:33], -0.5
	v_fma_f64 v[36:37], v[30:31], s[4:5], v[32:33]
	v_add_f64 v[30:31], v[38:39], v[34:35]
	v_add_f64 v[34:35], v[38:39], -v[34:35]
	v_add_f64 v[32:33], v[40:41], v[36:37]
	v_add_f64 v[36:37], v[40:41], -v[36:37]
	ds_read_b128 v[38:41], v54 offset:3456
	s_waitcnt lgkmcnt(0)
	s_barrier
	ds_write_b128 v1, v[3:6]
	ds_write_b128 v1, v[22:25] offset:576
	v_add_f64 v[3:4], v[59:60], v[67:68]
	v_add_f64 v[5:6], v[57:58], v[65:66]
	v_add_f64 v[22:23], v[57:58], -v[65:66]
	v_add_f64 v[24:25], v[59:60], -v[67:68]
	ds_write_b128 v1, v[30:33] offset:1152
	ds_write_b128 v1, v[7:10] offset:1728
	ds_write_b128 v1, v[26:29] offset:2304
	ds_write_b128 v1, v[34:37] offset:2880
	v_add_f64 v[7:8], v[48:49], v[61:62]
	v_add_f64 v[9:10], v[46:47], v[63:64]
	v_fma_f64 v[3:4], v[3:4], -0.5, v[55:56]
	v_fma_f64 v[5:6], v[5:6], -0.5, v[52:53]
	v_add_f64 v[26:27], v[38:39], v[48:49]
	v_add_f64 v[28:29], v[40:41], v[46:47]
	;; [unrolled: 1-line block ×4, first 2 shown]
	v_fma_f64 v[7:8], v[7:8], -0.5, v[38:39]
	v_fma_f64 v[9:10], v[9:10], -0.5, v[40:41]
	v_fma_f64 v[34:35], v[22:23], s[4:5], v[3:4]
	v_fma_f64 v[36:37], v[24:25], s[6:7], v[5:6]
	;; [unrolled: 1-line block ×4, first 2 shown]
	v_add_f64 v[26:27], v[26:27], v[61:62]
	v_add_f64 v[28:29], v[28:29], v[63:64]
	;; [unrolled: 1-line block ×4, first 2 shown]
	v_mul_f64 v[38:39], v[34:35], s[6:7]
	v_mul_f64 v[40:41], v[36:37], s[4:5]
	v_mul_f64 v[46:47], v[24:25], -0.5
	v_mul_f64 v[48:49], v[22:23], -0.5
	v_mul_u32_u24_e32 v1, 0xd80, v2
	v_add3_u32 v0, 0, v1, v0
	v_add_f64 v[3:4], v[26:27], v[30:31]
	v_add_f64 v[5:6], v[28:29], v[32:33]
	v_fma_f64 v[36:37], v[36:37], 0.5, v[38:39]
	v_fma_f64 v[34:35], v[34:35], 0.5, v[40:41]
	v_fma_f64 v[38:39], v[42:43], s[6:7], v[7:8]
	v_fma_f64 v[40:41], v[44:45], s[4:5], v[9:10]
	;; [unrolled: 1-line block ×6, first 2 shown]
	v_add_f64 v[7:8], v[26:27], -v[30:31]
	v_add_f64 v[9:10], v[28:29], -v[32:33]
	v_add_f64 v[22:23], v[38:39], v[36:37]
	v_add_f64 v[24:25], v[40:41], v[34:35]
	v_add_f64 v[26:27], v[38:39], -v[36:37]
	v_add_f64 v[28:29], v[40:41], -v[34:35]
	v_add_f64 v[30:31], v[42:43], v[46:47]
	v_add_f64 v[32:33], v[44:45], v[48:49]
	v_add_f64 v[34:35], v[42:43], -v[46:47]
	v_add_f64 v[36:37], v[44:45], -v[48:49]
	ds_write_b128 v0, v[3:6]
	ds_write_b128 v0, v[22:25] offset:576
	ds_write_b128 v0, v[30:33] offset:1152
	;; [unrolled: 1-line block ×5, first 2 shown]
	v_mul_u32_u24_e32 v0, 5, v14
	v_lshlrev_b32_e32 v30, 4, v0
	s_waitcnt lgkmcnt(0)
	s_barrier
	global_load_dwordx4 v[0:3], v30, s[12:13] offset:3360
	global_load_dwordx4 v[4:7], v30, s[12:13] offset:3376
	;; [unrolled: 1-line block ×5, first 2 shown]
	ds_read_b128 v[30:33], v54 offset:6912
	ds_read_b128 v[34:37], v54 offset:10368
	;; [unrolled: 1-line block ×3, first 2 shown]
	s_waitcnt vmcnt(4) lgkmcnt(2)
	v_mul_f64 v[42:43], v[32:33], v[2:3]
	v_mul_f64 v[44:45], v[30:31], v[2:3]
	s_waitcnt lgkmcnt(1)
	v_mul_f64 v[46:47], v[36:37], v[2:3]
	v_mul_f64 v[2:3], v[34:35], v[2:3]
	v_fma_f64 v[42:43], v[30:31], v[0:1], -v[42:43]
	v_fma_f64 v[44:45], v[32:33], v[0:1], v[44:45]
	ds_read_b128 v[30:33], v54 offset:17280
	v_fma_f64 v[46:47], v[34:35], v[0:1], -v[46:47]
	s_waitcnt vmcnt(3) lgkmcnt(1)
	v_mul_f64 v[34:35], v[40:41], v[6:7]
	v_fma_f64 v[48:49], v[36:37], v[0:1], v[2:3]
	v_mul_f64 v[36:37], v[38:39], v[6:7]
	s_waitcnt lgkmcnt(0)
	v_mul_f64 v[50:51], v[32:33], v[6:7]
	v_mul_f64 v[6:7], v[30:31], v[6:7]
	ds_read_b128 v[0:3], v54 offset:20736
	v_fma_f64 v[34:35], v[38:39], v[4:5], -v[34:35]
	v_fma_f64 v[36:37], v[40:41], v[4:5], v[36:37]
	v_fma_f64 v[50:51], v[30:31], v[4:5], -v[50:51]
	v_fma_f64 v[52:53], v[32:33], v[4:5], v[6:7]
	ds_read_b128 v[4:7], v54 offset:24192
	s_waitcnt vmcnt(2) lgkmcnt(1)
	v_mul_f64 v[30:31], v[2:3], v[10:11]
	v_mul_f64 v[32:33], v[0:1], v[10:11]
	s_waitcnt lgkmcnt(0)
	v_mul_f64 v[38:39], v[6:7], v[10:11]
	v_mul_f64 v[10:11], v[4:5], v[10:11]
	v_fma_f64 v[30:31], v[0:1], v[8:9], -v[30:31]
	v_fma_f64 v[32:33], v[2:3], v[8:9], v[32:33]
	ds_read_b128 v[0:3], v54 offset:27648
	v_fma_f64 v[55:56], v[4:5], v[8:9], -v[38:39]
	v_fma_f64 v[57:58], v[6:7], v[8:9], v[10:11]
	ds_read_b128 v[4:7], v54 offset:31104
	s_waitcnt vmcnt(1) lgkmcnt(1)
	v_mul_f64 v[8:9], v[2:3], v[24:25]
	v_mul_f64 v[10:11], v[0:1], v[24:25]
	v_fma_f64 v[8:9], v[0:1], v[22:23], -v[8:9]
	v_fma_f64 v[10:11], v[2:3], v[22:23], v[10:11]
	s_waitcnt lgkmcnt(0)
	v_mul_f64 v[0:1], v[6:7], v[24:25]
	v_mul_f64 v[2:3], v[4:5], v[24:25]
	v_fma_f64 v[59:60], v[4:5], v[22:23], -v[0:1]
	v_fma_f64 v[61:62], v[6:7], v[22:23], v[2:3]
	ds_read_b128 v[0:3], v54 offset:34560
	s_waitcnt vmcnt(0) lgkmcnt(0)
	v_mul_f64 v[4:5], v[2:3], v[28:29]
	v_mul_f64 v[6:7], v[0:1], v[28:29]
	v_fma_f64 v[22:23], v[0:1], v[26:27], -v[4:5]
	v_fma_f64 v[24:25], v[2:3], v[26:27], v[6:7]
	ds_read_b128 v[0:3], v54 offset:38016
	s_waitcnt lgkmcnt(0)
	v_mul_f64 v[4:5], v[2:3], v[28:29]
	v_fma_f64 v[63:64], v[0:1], v[26:27], -v[4:5]
	v_mul_f64 v[0:1], v[0:1], v[28:29]
	v_add_f64 v[4:5], v[34:35], v[8:9]
	v_fma_f64 v[65:66], v[2:3], v[26:27], v[0:1]
	ds_read_b128 v[0:3], v54
	s_waitcnt lgkmcnt(0)
	v_fma_f64 v[26:27], v[4:5], -0.5, v[0:1]
	v_add_f64 v[4:5], v[36:37], v[10:11]
	v_add_f64 v[0:1], v[0:1], v[34:35]
	v_add_f64 v[34:35], v[34:35], -v[8:9]
	v_fma_f64 v[28:29], v[4:5], -0.5, v[2:3]
	v_add_f64 v[4:5], v[0:1], v[8:9]
	v_add_f64 v[0:1], v[42:43], v[30:31]
	;; [unrolled: 1-line block ×3, first 2 shown]
	v_add_f64 v[36:37], v[36:37], -v[10:11]
	v_add_f64 v[38:39], v[0:1], v[22:23]
	v_add_f64 v[0:1], v[44:45], v[32:33]
	;; [unrolled: 1-line block ×5, first 2 shown]
	v_add_f64 v[4:5], v[4:5], -v[38:39]
	v_add_f64 v[38:39], v[32:33], v[24:25]
	v_add_f64 v[32:33], v[32:33], -v[24:25]
	v_add_f64 v[2:3], v[6:7], v[40:41]
	;; [unrolled: 2-line block ×3, first 2 shown]
	v_fma_f64 v[38:39], v[38:39], -0.5, v[44:45]
	v_add_f64 v[30:31], v[30:31], -v[22:23]
	v_fma_f64 v[44:45], v[34:35], s[4:5], v[28:29]
	v_fma_f64 v[34:35], v[34:35], s[6:7], v[28:29]
	v_fma_f64 v[40:41], v[40:41], -0.5, v[42:43]
	v_fma_f64 v[42:43], v[36:37], s[6:7], v[26:27]
	v_fma_f64 v[36:37], v[36:37], s[4:5], v[26:27]
	;; [unrolled: 1-line block ×4, first 2 shown]
	v_add_f64 v[38:39], v[50:51], v[59:60]
	v_fma_f64 v[10:11], v[32:33], s[6:7], v[40:41]
	v_fma_f64 v[32:33], v[32:33], s[4:5], v[40:41]
	v_mul_f64 v[22:23], v[8:9], s[6:7]
	v_mul_f64 v[28:29], v[32:33], -0.5
	v_fma_f64 v[22:23], v[10:11], 0.5, v[22:23]
	v_mul_f64 v[10:11], v[10:11], s[4:5]
	v_fma_f64 v[30:31], v[26:27], s[6:7], v[28:29]
	v_mul_f64 v[26:27], v[26:27], -0.5
	v_fma_f64 v[24:25], v[8:9], 0.5, v[10:11]
	v_add_f64 v[8:9], v[42:43], v[22:23]
	v_add_f64 v[22:23], v[42:43], -v[22:23]
	v_fma_f64 v[32:33], v[32:33], s[4:5], v[26:27]
	v_add_f64 v[26:27], v[36:37], v[30:31]
	v_add_f64 v[30:31], v[36:37], -v[30:31]
	v_add_f64 v[10:11], v[44:45], v[24:25]
	v_add_f64 v[24:25], v[44:45], -v[24:25]
	;; [unrolled: 2-line block ×3, first 2 shown]
	ds_read_b128 v[34:37], v54 offset:3456
	s_waitcnt lgkmcnt(0)
	s_barrier
	v_fma_f64 v[67:68], v[38:39], -0.5, v[34:35]
	v_add_f64 v[38:39], v[52:53], v[61:62]
	v_add_f64 v[34:35], v[34:35], v[50:51]
	v_add_f64 v[50:51], v[50:51], -v[59:60]
	v_fma_f64 v[69:70], v[38:39], -0.5, v[36:37]
	v_add_f64 v[38:39], v[34:35], v[59:60]
	v_add_f64 v[34:35], v[46:47], v[55:56]
	;; [unrolled: 1-line block ×3, first 2 shown]
	v_add_f64 v[52:53], v[52:53], -v[61:62]
	v_add_f64 v[42:43], v[34:35], v[63:64]
	v_add_f64 v[34:35], v[48:49], v[57:58]
	;; [unrolled: 1-line block ×3, first 2 shown]
	v_fma_f64 v[61:62], v[52:53], s[6:7], v[67:68]
	v_add_f64 v[44:45], v[34:35], v[65:66]
	v_add_f64 v[34:35], v[38:39], v[42:43]
	v_add_f64 v[38:39], v[38:39], -v[42:43]
	v_add_f64 v[42:43], v[57:58], v[65:66]
	v_add_f64 v[57:58], v[57:58], -v[65:66]
	;; [unrolled: 2-line block ×3, first 2 shown]
	v_fma_f64 v[71:72], v[42:43], -0.5, v[48:49]
	v_add_f64 v[42:43], v[55:56], v[63:64]
	v_add_f64 v[55:56], v[55:56], -v[63:64]
	v_fma_f64 v[63:64], v[50:51], s[4:5], v[69:70]
	v_fma_f64 v[59:60], v[42:43], -0.5, v[46:47]
	v_fma_f64 v[42:43], v[55:56], s[4:5], v[71:72]
	v_fma_f64 v[44:45], v[57:58], s[6:7], v[59:60]
	v_mul_f64 v[46:47], v[42:43], s[6:7]
	v_fma_f64 v[57:58], v[57:58], s[4:5], v[59:60]
	v_fma_f64 v[59:60], v[52:53], s[4:5], v[67:68]
	v_fma_f64 v[46:47], v[44:45], 0.5, v[46:47]
	v_mul_f64 v[44:45], v[44:45], s[4:5]
	v_mul_f64 v[52:53], v[57:58], -0.5
	v_fma_f64 v[48:49], v[42:43], 0.5, v[44:45]
	v_add_f64 v[42:43], v[61:62], v[46:47]
	v_add_f64 v[46:47], v[61:62], -v[46:47]
	v_fma_f64 v[61:62], v[50:51], s[6:7], v[69:70]
	v_fma_f64 v[50:51], v[55:56], s[6:7], v[71:72]
	v_add_f64 v[44:45], v[63:64], v[48:49]
	v_add_f64 v[48:49], v[63:64], -v[48:49]
	v_fma_f64 v[55:56], v[50:51], s[6:7], v[52:53]
	v_mul_f64 v[50:51], v[50:51], -0.5
	v_fma_f64 v[57:58], v[57:58], s[4:5], v[50:51]
	v_add_f64 v[50:51], v[59:60], v[55:56]
	v_add_f64 v[55:56], v[59:60], -v[55:56]
	s_movk_i32 s4, 0x5000
	v_add_f64 v[52:53], v[61:62], v[57:58]
	v_add_f64 v[57:58], v[61:62], -v[57:58]
	ds_write_b128 v54, v[0:3]
	ds_write_b128 v54, v[8:11] offset:3456
	ds_write_b128 v54, v[26:29] offset:6912
	;; [unrolled: 1-line block ×11, first 2 shown]
	v_mov_b32_e32 v4, s13
	v_add_co_u32_e32 v0, vcc, s12, v18
	v_addc_co_u32_e32 v1, vcc, v4, v19, vcc
	v_add_co_u32_e32 v0, vcc, s4, v0
	v_addc_co_u32_e32 v1, vcc, 0, v1, vcc
	s_waitcnt lgkmcnt(0)
	s_barrier
	global_load_dwordx4 v[0:3], v[0:1], off offset:160
	v_add_co_u32_e32 v24, vcc, s12, v20
	v_addc_co_u32_e32 v27, vcc, v4, v21, vcc
	v_add_co_u32_e32 v4, vcc, s4, v24
	v_addc_co_u32_e32 v5, vcc, 0, v27, vcc
	global_load_dwordx4 v[4:7], v[4:5], off offset:3616
	s_movk_i32 s4, 0x6000
	v_add_co_u32_e32 v8, vcc, s4, v24
	v_addc_co_u32_e32 v9, vcc, 0, v27, vcc
	s_movk_i32 s4, 0x7000
	v_add_co_u32_e32 v18, vcc, s4, v24
	v_addc_co_u32_e32 v19, vcc, 0, v27, vcc
	global_load_dwordx4 v[8:11], v[8:9], off offset:2976
	s_mov_b32 s4, 0x8000
	global_load_dwordx4 v[18:21], v[18:19], off offset:2336
	v_add_co_u32_e32 v22, vcc, s4, v24
	v_addc_co_u32_e32 v23, vcc, 0, v27, vcc
	s_mov_b32 s4, 0x9000
	v_add_co_u32_e32 v26, vcc, s4, v24
	global_load_dwordx4 v[22:25], v[22:23], off offset:1696
	v_addc_co_u32_e32 v27, vcc, 0, v27, vcc
	global_load_dwordx4 v[26:29], v[26:27], off offset:1056
	ds_read_b128 v[30:33], v54 offset:20736
	ds_read_b128 v[34:37], v54 offset:24192
	;; [unrolled: 1-line block ×4, first 2 shown]
	s_waitcnt vmcnt(5) lgkmcnt(3)
	v_mul_f64 v[46:47], v[32:33], v[2:3]
	v_mul_f64 v[2:3], v[30:31], v[2:3]
	v_fma_f64 v[30:31], v[30:31], v[0:1], -v[46:47]
	s_waitcnt vmcnt(4) lgkmcnt(2)
	v_mul_f64 v[48:49], v[36:37], v[6:7]
	v_mul_f64 v[6:7], v[34:35], v[6:7]
	v_fma_f64 v[32:33], v[32:33], v[0:1], v[2:3]
	ds_read_b128 v[0:3], v54 offset:34560
	v_fma_f64 v[34:35], v[34:35], v[4:5], -v[48:49]
	v_fma_f64 v[36:37], v[36:37], v[4:5], v[6:7]
	ds_read_b128 v[4:7], v54 offset:38016
	s_waitcnt vmcnt(3) lgkmcnt(3)
	v_mul_f64 v[50:51], v[40:41], v[10:11]
	v_mul_f64 v[10:11], v[38:39], v[10:11]
	s_waitcnt vmcnt(2) lgkmcnt(2)
	v_mul_f64 v[46:47], v[44:45], v[20:21]
	v_mul_f64 v[20:21], v[42:43], v[20:21]
	v_fma_f64 v[38:39], v[38:39], v[8:9], -v[50:51]
	v_fma_f64 v[40:41], v[40:41], v[8:9], v[10:11]
	v_fma_f64 v[42:43], v[42:43], v[18:19], -v[46:47]
	s_waitcnt vmcnt(1) lgkmcnt(1)
	v_mul_f64 v[46:47], v[2:3], v[24:25]
	v_mul_f64 v[24:25], v[0:1], v[24:25]
	ds_read_b128 v[8:11], v54
	s_waitcnt vmcnt(0) lgkmcnt(1)
	v_mul_f64 v[48:49], v[6:7], v[28:29]
	v_fma_f64 v[44:45], v[44:45], v[18:19], v[20:21]
	v_mul_f64 v[28:29], v[4:5], v[28:29]
	v_fma_f64 v[46:47], v[0:1], v[22:23], -v[46:47]
	v_fma_f64 v[50:51], v[2:3], v[22:23], v[24:25]
	ds_read_b128 v[0:3], v54 offset:3456
	s_waitcnt lgkmcnt(1)
	v_add_f64 v[18:19], v[8:9], -v[30:31]
	v_add_f64 v[20:21], v[10:11], -v[32:33]
	v_fma_f64 v[52:53], v[4:5], v[26:27], -v[48:49]
	v_fma_f64 v[55:56], v[6:7], v[26:27], v[28:29]
	ds_read_b128 v[26:29], v54 offset:10368
	ds_read_b128 v[30:33], v54 offset:13824
	s_waitcnt lgkmcnt(2)
	v_add_f64 v[22:23], v[0:1], -v[34:35]
	v_add_f64 v[24:25], v[2:3], -v[36:37]
	v_fma_f64 v[4:5], v[8:9], 2.0, -v[18:19]
	v_fma_f64 v[6:7], v[10:11], 2.0, -v[20:21]
	ds_read_b128 v[8:11], v54 offset:6912
	v_fma_f64 v[0:1], v[0:1], 2.0, -v[22:23]
	s_waitcnt lgkmcnt(0)
	v_add_f64 v[34:35], v[8:9], -v[38:39]
	v_add_f64 v[38:39], v[26:27], -v[42:43]
	;; [unrolled: 1-line block ×3, first 2 shown]
	ds_read_b128 v[46:49], v54 offset:17280
	v_add_f64 v[36:37], v[10:11], -v[40:41]
	v_add_f64 v[40:41], v[28:29], -v[44:45]
	;; [unrolled: 1-line block ×3, first 2 shown]
	v_fma_f64 v[2:3], v[2:3], 2.0, -v[24:25]
	s_waitcnt lgkmcnt(0)
	v_add_f64 v[50:51], v[46:47], -v[52:53]
	v_add_f64 v[52:53], v[48:49], -v[55:56]
	v_fma_f64 v[8:9], v[8:9], 2.0, -v[34:35]
	v_fma_f64 v[26:27], v[26:27], 2.0, -v[38:39]
	;; [unrolled: 1-line block ×8, first 2 shown]
	s_barrier
	ds_write_b128 v54, v[4:7]
	ds_write_b128 v54, v[18:21] offset:20736
	ds_write_b128 v54, v[0:3] offset:3456
	;; [unrolled: 1-line block ×11, first 2 shown]
	s_waitcnt lgkmcnt(0)
	s_barrier
	s_and_saveexec_b64 s[4:5], s[0:1]
	s_cbranch_execz .LBB0_21
; %bb.20:
	v_mul_lo_u32 v0, s3, v16
	v_mul_lo_u32 v1, s2, v17
	v_mad_u64_u32 v[4:5], s[0:1], s2, v16, 0
	v_mov_b32_e32 v6, s11
	v_lshl_add_u32 v10, v14, 4, 0
	v_add3_u32 v5, v5, v1, v0
	v_lshlrev_b64 v[4:5], 4, v[4:5]
	ds_read_b128 v[0:3], v10
	v_add_co_u32_e32 v7, vcc, s10, v4
	v_addc_co_u32_e32 v6, vcc, v6, v5, vcc
	v_lshlrev_b64 v[4:5], 4, v[12:13]
	v_add_co_u32_e32 v11, vcc, v7, v4
	v_addc_co_u32_e32 v12, vcc, v6, v5, vcc
	v_lshlrev_b64 v[4:5], 4, v[14:15]
	v_add_co_u32_e32 v8, vcc, v11, v4
	v_addc_co_u32_e32 v9, vcc, v12, v5, vcc
	ds_read_b128 v[4:7], v10 offset:3456
	s_waitcnt lgkmcnt(1)
	global_store_dwordx4 v[8:9], v[0:3], off
	s_nop 0
	v_add_u32_e32 v0, 0xd8, v14
	v_mov_b32_e32 v1, v15
	v_lshlrev_b64 v[0:1], 4, v[0:1]
	v_add_co_u32_e32 v0, vcc, v11, v0
	v_addc_co_u32_e32 v1, vcc, v12, v1, vcc
	s_waitcnt lgkmcnt(0)
	global_store_dwordx4 v[0:1], v[4:7], off
	ds_read_b128 v[0:3], v10 offset:6912
	v_add_u32_e32 v4, 0x1b0, v14
	v_mov_b32_e32 v5, v15
	v_lshlrev_b64 v[4:5], 4, v[4:5]
	v_add_co_u32_e32 v8, vcc, v11, v4
	v_addc_co_u32_e32 v9, vcc, v12, v5, vcc
	ds_read_b128 v[4:7], v10 offset:10368
	s_waitcnt lgkmcnt(1)
	global_store_dwordx4 v[8:9], v[0:3], off
	s_nop 0
	v_add_u32_e32 v0, 0x288, v14
	v_mov_b32_e32 v1, v15
	v_lshlrev_b64 v[0:1], 4, v[0:1]
	v_add_co_u32_e32 v0, vcc, v11, v0
	v_addc_co_u32_e32 v1, vcc, v12, v1, vcc
	s_waitcnt lgkmcnt(0)
	global_store_dwordx4 v[0:1], v[4:7], off
	ds_read_b128 v[0:3], v10 offset:13824
	v_add_u32_e32 v4, 0x360, v14
	v_mov_b32_e32 v5, v15
	;; [unrolled: 17-line block ×5, first 2 shown]
	v_lshlrev_b64 v[4:5], 4, v[4:5]
	v_add_u32_e32 v14, 0x948, v14
	v_add_co_u32_e32 v8, vcc, v11, v4
	v_addc_co_u32_e32 v9, vcc, v12, v5, vcc
	ds_read_b128 v[4:7], v10 offset:38016
	s_waitcnt lgkmcnt(1)
	global_store_dwordx4 v[8:9], v[0:3], off
	s_nop 0
	v_lshlrev_b64 v[0:1], 4, v[14:15]
	v_add_co_u32_e32 v0, vcc, v11, v0
	v_addc_co_u32_e32 v1, vcc, v12, v1, vcc
	s_waitcnt lgkmcnt(0)
	global_store_dwordx4 v[0:1], v[4:7], off
.LBB0_21:
	s_endpgm
	.section	.rodata,"a",@progbits
	.p2align	6, 0x0
	.amdhsa_kernel fft_rtc_fwd_len2592_factors_6_6_6_6_2_wgs_216_tpt_216_halfLds_dp_op_CI_CI_unitstride_sbrr_C2R_dirReg
		.amdhsa_group_segment_fixed_size 0
		.amdhsa_private_segment_fixed_size 0
		.amdhsa_kernarg_size 104
		.amdhsa_user_sgpr_count 6
		.amdhsa_user_sgpr_private_segment_buffer 1
		.amdhsa_user_sgpr_dispatch_ptr 0
		.amdhsa_user_sgpr_queue_ptr 0
		.amdhsa_user_sgpr_kernarg_segment_ptr 1
		.amdhsa_user_sgpr_dispatch_id 0
		.amdhsa_user_sgpr_flat_scratch_init 0
		.amdhsa_user_sgpr_private_segment_size 0
		.amdhsa_uses_dynamic_stack 0
		.amdhsa_system_sgpr_private_segment_wavefront_offset 0
		.amdhsa_system_sgpr_workgroup_id_x 1
		.amdhsa_system_sgpr_workgroup_id_y 0
		.amdhsa_system_sgpr_workgroup_id_z 0
		.amdhsa_system_sgpr_workgroup_info 0
		.amdhsa_system_vgpr_workitem_id 0
		.amdhsa_next_free_vgpr 75
		.amdhsa_next_free_sgpr 28
		.amdhsa_reserve_vcc 1
		.amdhsa_reserve_flat_scratch 0
		.amdhsa_float_round_mode_32 0
		.amdhsa_float_round_mode_16_64 0
		.amdhsa_float_denorm_mode_32 3
		.amdhsa_float_denorm_mode_16_64 3
		.amdhsa_dx10_clamp 1
		.amdhsa_ieee_mode 1
		.amdhsa_fp16_overflow 0
		.amdhsa_exception_fp_ieee_invalid_op 0
		.amdhsa_exception_fp_denorm_src 0
		.amdhsa_exception_fp_ieee_div_zero 0
		.amdhsa_exception_fp_ieee_overflow 0
		.amdhsa_exception_fp_ieee_underflow 0
		.amdhsa_exception_fp_ieee_inexact 0
		.amdhsa_exception_int_div_zero 0
	.end_amdhsa_kernel
	.text
.Lfunc_end0:
	.size	fft_rtc_fwd_len2592_factors_6_6_6_6_2_wgs_216_tpt_216_halfLds_dp_op_CI_CI_unitstride_sbrr_C2R_dirReg, .Lfunc_end0-fft_rtc_fwd_len2592_factors_6_6_6_6_2_wgs_216_tpt_216_halfLds_dp_op_CI_CI_unitstride_sbrr_C2R_dirReg
                                        ; -- End function
	.section	.AMDGPU.csdata,"",@progbits
; Kernel info:
; codeLenInByte = 9820
; NumSgprs: 32
; NumVgprs: 75
; ScratchSize: 0
; MemoryBound: 0
; FloatMode: 240
; IeeeMode: 1
; LDSByteSize: 0 bytes/workgroup (compile time only)
; SGPRBlocks: 3
; VGPRBlocks: 18
; NumSGPRsForWavesPerEU: 32
; NumVGPRsForWavesPerEU: 75
; Occupancy: 3
; WaveLimiterHint : 1
; COMPUTE_PGM_RSRC2:SCRATCH_EN: 0
; COMPUTE_PGM_RSRC2:USER_SGPR: 6
; COMPUTE_PGM_RSRC2:TRAP_HANDLER: 0
; COMPUTE_PGM_RSRC2:TGID_X_EN: 1
; COMPUTE_PGM_RSRC2:TGID_Y_EN: 0
; COMPUTE_PGM_RSRC2:TGID_Z_EN: 0
; COMPUTE_PGM_RSRC2:TIDIG_COMP_CNT: 0
	.type	__hip_cuid_5c9f6c95e6950d91,@object ; @__hip_cuid_5c9f6c95e6950d91
	.section	.bss,"aw",@nobits
	.globl	__hip_cuid_5c9f6c95e6950d91
__hip_cuid_5c9f6c95e6950d91:
	.byte	0                               ; 0x0
	.size	__hip_cuid_5c9f6c95e6950d91, 1

	.ident	"AMD clang version 19.0.0git (https://github.com/RadeonOpenCompute/llvm-project roc-6.4.0 25133 c7fe45cf4b819c5991fe208aaa96edf142730f1d)"
	.section	".note.GNU-stack","",@progbits
	.addrsig
	.addrsig_sym __hip_cuid_5c9f6c95e6950d91
	.amdgpu_metadata
---
amdhsa.kernels:
  - .args:
      - .actual_access:  read_only
        .address_space:  global
        .offset:         0
        .size:           8
        .value_kind:     global_buffer
      - .offset:         8
        .size:           8
        .value_kind:     by_value
      - .actual_access:  read_only
        .address_space:  global
        .offset:         16
        .size:           8
        .value_kind:     global_buffer
      - .actual_access:  read_only
        .address_space:  global
        .offset:         24
        .size:           8
        .value_kind:     global_buffer
      - .actual_access:  read_only
        .address_space:  global
        .offset:         32
        .size:           8
        .value_kind:     global_buffer
      - .offset:         40
        .size:           8
        .value_kind:     by_value
      - .actual_access:  read_only
        .address_space:  global
        .offset:         48
        .size:           8
        .value_kind:     global_buffer
      - .actual_access:  read_only
        .address_space:  global
        .offset:         56
        .size:           8
        .value_kind:     global_buffer
      - .offset:         64
        .size:           4
        .value_kind:     by_value
      - .actual_access:  read_only
        .address_space:  global
        .offset:         72
        .size:           8
        .value_kind:     global_buffer
      - .actual_access:  read_only
        .address_space:  global
        .offset:         80
        .size:           8
        .value_kind:     global_buffer
      - .actual_access:  read_only
        .address_space:  global
        .offset:         88
        .size:           8
        .value_kind:     global_buffer
      - .actual_access:  write_only
        .address_space:  global
        .offset:         96
        .size:           8
        .value_kind:     global_buffer
    .group_segment_fixed_size: 0
    .kernarg_segment_align: 8
    .kernarg_segment_size: 104
    .language:       OpenCL C
    .language_version:
      - 2
      - 0
    .max_flat_workgroup_size: 216
    .name:           fft_rtc_fwd_len2592_factors_6_6_6_6_2_wgs_216_tpt_216_halfLds_dp_op_CI_CI_unitstride_sbrr_C2R_dirReg
    .private_segment_fixed_size: 0
    .sgpr_count:     32
    .sgpr_spill_count: 0
    .symbol:         fft_rtc_fwd_len2592_factors_6_6_6_6_2_wgs_216_tpt_216_halfLds_dp_op_CI_CI_unitstride_sbrr_C2R_dirReg.kd
    .uniform_work_group_size: 1
    .uses_dynamic_stack: false
    .vgpr_count:     75
    .vgpr_spill_count: 0
    .wavefront_size: 64
amdhsa.target:   amdgcn-amd-amdhsa--gfx906
amdhsa.version:
  - 1
  - 2
...

	.end_amdgpu_metadata
